;; amdgpu-corpus repo=ROCm/rocFFT kind=compiled arch=gfx1030 opt=O3
	.text
	.amdgcn_target "amdgcn-amd-amdhsa--gfx1030"
	.amdhsa_code_object_version 6
	.protected	bluestein_single_back_len1344_dim1_half_op_CI_CI ; -- Begin function bluestein_single_back_len1344_dim1_half_op_CI_CI
	.globl	bluestein_single_back_len1344_dim1_half_op_CI_CI
	.p2align	8
	.type	bluestein_single_back_len1344_dim1_half_op_CI_CI,@function
bluestein_single_back_len1344_dim1_half_op_CI_CI: ; @bluestein_single_back_len1344_dim1_half_op_CI_CI
; %bb.0:
	s_load_dwordx4 s[16:19], s[4:5], 0x28
	v_mul_u32_u24_e32 v1, 0x125, v0
	v_mov_b32_e32 v5, 0
	s_mov_b32 s0, exec_lo
	v_lshrrev_b32_e32 v1, 16, v1
	v_add_nc_u32_e32 v4, s6, v1
	s_waitcnt lgkmcnt(0)
	v_cmpx_gt_u64_e64 s[16:17], v[4:5]
	s_cbranch_execz .LBB0_10
; %bb.1:
	s_clause 0x1
	s_load_dwordx4 s[8:11], s[4:5], 0x18
	s_load_dwordx4 s[0:3], s[4:5], 0x0
	v_mul_lo_u16 v1, 0xe0, v1
	s_load_dwordx2 s[4:5], s[4:5], 0x38
	v_sub_nc_u16 v0, v0, v1
	v_and_b32_e32 v23, 0xffff, v0
	v_lshlrev_b32_e32 v22, 2, v23
	v_add_nc_u32_e32 v52, 0xe0, v23
	s_waitcnt lgkmcnt(0)
	s_load_dwordx4 s[12:15], s[8:9], 0x0
	v_add_co_u32 v28, s9, s0, v22
	v_add_co_ci_u32_e64 v29, null, s1, 0, s9
	s_waitcnt lgkmcnt(0)
	v_mad_u64_u32 v[5:6], null, s12, v23, 0
	v_mad_u64_u32 v[1:2], null, s14, v4, 0
	s_mul_i32 s6, s13, 0xa80
	s_mul_hi_u32 s7, s12, 0xa80
	s_mul_i32 s8, s12, 0xa80
	s_add_i32 s7, s7, s6
	v_mov_b32_e32 v3, v6
	s_mul_i32 s6, s13, 0xfffff900
	s_sub_i32 s6, s6, s12
	v_mad_u64_u32 v[6:7], null, s15, v4, v[2:3]
	v_mad_u64_u32 v[7:8], null, s13, v23, v[3:4]
	v_mov_b32_e32 v2, v6
	v_mov_b32_e32 v6, v7
	v_lshlrev_b64 v[1:2], 2, v[1:2]
	v_lshlrev_b64 v[5:6], 2, v[5:6]
	v_add_co_u32 v1, vcc_lo, s18, v1
	v_add_co_ci_u32_e32 v2, vcc_lo, s19, v2, vcc_lo
	v_add_co_u32 v1, vcc_lo, v1, v5
	v_add_co_ci_u32_e32 v2, vcc_lo, v2, v6, vcc_lo
	;; [unrolled: 2-line block ×3, first 2 shown]
	global_load_dword v3, v[1:2], off
	v_mad_u64_u32 v[7:8], null, 0xfffff900, s12, v[5:6]
	v_add_nc_u32_e32 v8, s6, v8
	v_add_co_u32 v9, vcc_lo, v7, s8
	v_add_co_ci_u32_e32 v10, vcc_lo, s7, v8, vcc_lo
	v_add_co_u32 v11, vcc_lo, 0x800, v28
	v_add_co_ci_u32_e32 v12, vcc_lo, 0, v29, vcc_lo
	v_mad_u64_u32 v[1:2], null, 0xfffff900, s12, v[9:10]
	global_load_dword v26, v22, s[0:1]
	global_load_dword v13, v[5:6], off
	global_load_dword v25, v[11:12], off offset:640
	v_add_nc_u32_e32 v2, s6, v2
	global_load_dword v7, v[7:8], off
	s_clause 0x1
	global_load_dword v24, v22, s[0:1] offset:896
	global_load_dword v21, v[11:12], off offset:1536
	s_clause 0x1
	global_load_dword v8, v[9:10], off
	global_load_dword v9, v[1:2], off
	v_add_co_u32 v1, vcc_lo, v1, s8
	v_add_co_ci_u32_e32 v2, vcc_lo, s7, v2, vcc_lo
	v_add_co_u32 v5, vcc_lo, 0x1000, v28
	v_add_co_ci_u32_e32 v6, vcc_lo, 0, v29, vcc_lo
	global_load_dword v2, v[1:2], off
	s_clause 0x1
	global_load_dword v20, v22, s[0:1] offset:1792
	global_load_dword v19, v[5:6], off offset:384
	v_add_nc_u32_e32 v1, 0xe00, v22
	s_load_dwordx4 s[8:11], s[10:11], 0x0
	v_cmp_gt_u16_e32 vcc_lo, 0xc0, v0
	s_waitcnt vmcnt(11)
	v_lshrrev_b32_e32 v10, 16, v3
	s_waitcnt vmcnt(10)
	v_mul_f16_sdwa v11, v26, v3 dst_sel:DWORD dst_unused:UNUSED_PAD src0_sel:WORD_1 src1_sel:DWORD
	v_mul_f16_sdwa v12, v26, v10 dst_sel:DWORD dst_unused:UNUSED_PAD src0_sel:WORD_1 src1_sel:DWORD
	s_waitcnt vmcnt(9)
	v_lshrrev_b32_e32 v14, 16, v13
	s_waitcnt vmcnt(8)
	v_mul_f16_sdwa v15, v25, v13 dst_sel:DWORD dst_unused:UNUSED_PAD src0_sel:WORD_1 src1_sel:DWORD
	v_fma_f16 v10, v26, v10, -v11
	v_fmac_f16_e32 v12, v26, v3
	s_waitcnt vmcnt(7)
	v_lshrrev_b32_e32 v3, 16, v7
	v_mul_f16_sdwa v11, v25, v14 dst_sel:DWORD dst_unused:UNUSED_PAD src0_sel:WORD_1 src1_sel:DWORD
	v_fma_f16 v14, v25, v14, -v15
	s_waitcnt vmcnt(6)
	v_mul_f16_sdwa v15, v24, v7 dst_sel:DWORD dst_unused:UNUSED_PAD src0_sel:WORD_1 src1_sel:DWORD
	v_pack_b32_f16 v10, v12, v10
	v_mul_f16_sdwa v12, v24, v3 dst_sel:DWORD dst_unused:UNUSED_PAD src0_sel:WORD_1 src1_sel:DWORD
	v_fmac_f16_e32 v11, v25, v13
	s_waitcnt vmcnt(4)
	v_lshrrev_b32_e32 v13, 16, v8
	v_fma_f16 v3, v24, v3, -v15
	v_mul_f16_sdwa v15, v21, v8 dst_sel:DWORD dst_unused:UNUSED_PAD src0_sel:WORD_1 src1_sel:DWORD
	v_fmac_f16_e32 v12, v24, v7
	s_waitcnt vmcnt(3)
	v_lshrrev_b32_e32 v7, 16, v9
	s_waitcnt vmcnt(2)
	v_lshrrev_b32_e32 v17, 16, v2
	v_mul_f16_sdwa v16, v21, v13 dst_sel:DWORD dst_unused:UNUSED_PAD src0_sel:WORD_1 src1_sel:DWORD
	v_fma_f16 v13, v21, v13, -v15
	s_waitcnt vmcnt(1)
	v_mul_f16_sdwa v15, v20, v9 dst_sel:DWORD dst_unused:UNUSED_PAD src0_sel:WORD_1 src1_sel:DWORD
	v_mul_f16_sdwa v18, v20, v7 dst_sel:DWORD dst_unused:UNUSED_PAD src0_sel:WORD_1 src1_sel:DWORD
	s_waitcnt vmcnt(0)
	v_mul_f16_sdwa v27, v19, v2 dst_sel:DWORD dst_unused:UNUSED_PAD src0_sel:WORD_1 src1_sel:DWORD
	v_mul_f16_sdwa v30, v19, v17 dst_sel:DWORD dst_unused:UNUSED_PAD src0_sel:WORD_1 src1_sel:DWORD
	v_fmac_f16_e32 v16, v21, v8
	v_fma_f16 v7, v20, v7, -v15
	v_fmac_f16_e32 v18, v20, v9
	v_fma_f16 v8, v19, v17, -v27
	v_fmac_f16_e32 v30, v19, v2
	v_pack_b32_f16 v9, v11, v14
	v_pack_b32_f16 v3, v12, v3
	v_add_nc_u32_e32 v2, 0x700, v22
	v_pack_b32_f16 v7, v18, v7
	v_pack_b32_f16 v11, v16, v13
	;; [unrolled: 1-line block ×3, first 2 shown]
	ds_write_b32 v22, v9 offset:2688
	ds_write2_b32 v22, v10, v3 offset1:224
	ds_write_b32 v22, v7 offset:1792
	ds_write2_b32 v1, v11, v8 offset1:224
	s_waitcnt lgkmcnt(0)
	s_barrier
	buffer_gl0_inv
	ds_read2_b32 v[7:8], v22 offset1:224
	ds_read2_b32 v[9:10], v2 offset1:224
	;; [unrolled: 1-line block ×3, first 2 shown]
	v_and_b32_e32 v16, 1, v23
	v_lshlrev_b32_e32 v3, 1, v23
	v_lshlrev_b32_e32 v30, 3, v23
	s_waitcnt lgkmcnt(0)
	s_barrier
	v_lshlrev_b32_e32 v18, 2, v16
	v_lshlrev_b32_e32 v17, 2, v3
	buffer_gl0_inv
	v_add_nc_u32_e32 v53, 0x380, v3
	v_pk_add_f16 v13, v7, v10 neg_lo:[0,1] neg_hi:[0,1]
	v_pk_add_f16 v11, v8, v11 neg_lo:[0,1] neg_hi:[0,1]
	;; [unrolled: 1-line block ×3, first 2 shown]
	v_pk_fma_f16 v12, v7, 2.0, v13 op_sel_hi:[1,0,1] neg_lo:[0,0,1] neg_hi:[0,0,1]
	v_pk_fma_f16 v10, v8, 2.0, v11 op_sel_hi:[1,0,1] neg_lo:[0,0,1] neg_hi:[0,0,1]
	;; [unrolled: 1-line block ×3, first 2 shown]
	ds_write2_b64 v30, v[12:13], v[10:11] offset1:224
	ds_write_b64 v17, v[14:15] offset:3584
	s_waitcnt lgkmcnt(0)
	s_barrier
	buffer_gl0_inv
	global_load_dword v27, v18, s[2:3]
	ds_read2_b32 v[8:9], v22 offset1:224
	ds_read2_b32 v[10:11], v2 offset1:224
	;; [unrolled: 1-line block ×3, first 2 shown]
	v_lshlrev_b32_e32 v7, 1, v52
	v_and_or_b32 v15, 0x1fc, v3, v16
	v_and_b32_e32 v14, 3, v23
	s_waitcnt vmcnt(0) lgkmcnt(0)
	s_barrier
	v_and_or_b32 v17, 0x3fc, v7, v16
	v_and_or_b32 v16, 0x7fc, v53, v16
	v_lshlrev_b32_e32 v32, 2, v15
	v_lshlrev_b32_e32 v18, 2, v14
	buffer_gl0_inv
	v_lshlrev_b32_e32 v33, 2, v17
	v_lshlrev_b32_e32 v34, 2, v16
	v_lshrrev_b32_e32 v15, 16, v8
	v_lshrrev_b32_e32 v16, 16, v11
	v_lshrrev_b32_e32 v31, 16, v12
	v_lshrrev_b32_e32 v36, 16, v13
	v_lshrrev_b32_e32 v17, 16, v9
	v_lshrrev_b32_e32 v35, 16, v10
	v_mul_f16_sdwa v37, v16, v27 dst_sel:DWORD dst_unused:UNUSED_PAD src0_sel:DWORD src1_sel:WORD_1
	v_mul_f16_sdwa v38, v11, v27 dst_sel:DWORD dst_unused:UNUSED_PAD src0_sel:DWORD src1_sel:WORD_1
	v_mul_f16_sdwa v39, v31, v27 dst_sel:DWORD dst_unused:UNUSED_PAD src0_sel:DWORD src1_sel:WORD_1
	v_mul_f16_sdwa v40, v12, v27 dst_sel:DWORD dst_unused:UNUSED_PAD src0_sel:DWORD src1_sel:WORD_1
	v_mul_f16_sdwa v41, v36, v27 dst_sel:DWORD dst_unused:UNUSED_PAD src0_sel:DWORD src1_sel:WORD_1
	v_mul_f16_sdwa v42, v13, v27 dst_sel:DWORD dst_unused:UNUSED_PAD src0_sel:DWORD src1_sel:WORD_1
	v_fma_f16 v11, v11, v27, -v37
	v_fmac_f16_e32 v38, v16, v27
	v_fma_f16 v12, v12, v27, -v39
	v_fmac_f16_e32 v40, v31, v27
	v_fma_f16 v13, v13, v27, -v41
	v_fmac_f16_e32 v42, v36, v27
	v_sub_f16_e32 v11, v8, v11
	v_sub_f16_e32 v16, v15, v38
	v_sub_f16_e32 v12, v9, v12
	v_sub_f16_e32 v31, v17, v40
	v_sub_f16_e32 v13, v10, v13
	v_sub_f16_e32 v36, v35, v42
	v_fma_f16 v8, v8, 2.0, -v11
	v_fma_f16 v15, v15, 2.0, -v16
	v_fma_f16 v9, v9, 2.0, -v12
	v_fma_f16 v17, v17, 2.0, -v31
	v_fma_f16 v10, v10, 2.0, -v13
	v_fma_f16 v35, v35, 2.0, -v36
	v_pack_b32_f16 v11, v11, v16
	v_pack_b32_f16 v8, v8, v15
	v_pack_b32_f16 v12, v12, v31
	v_pack_b32_f16 v9, v9, v17
	v_pack_b32_f16 v13, v13, v36
	v_pack_b32_f16 v10, v10, v35
	ds_write2_b32 v32, v8, v11 offset1:2
	ds_write2_b32 v33, v9, v12 offset1:2
	ds_write2_b32 v34, v10, v13 offset1:2
	s_waitcnt lgkmcnt(0)
	s_barrier
	buffer_gl0_inv
	global_load_dword v31, v18, s[2:3] offset:8
	ds_read2_b32 v[8:9], v22 offset1:224
	ds_read2_b32 v[10:11], v2 offset1:224
	ds_read2_b32 v[12:13], v1 offset1:224
	v_and_or_b32 v16, 0x1f8, v3, v14
	v_and_or_b32 v17, 0x3f8, v7, v14
	v_and_or_b32 v14, 0x7f8, v53, v14
	v_and_b32_e32 v15, 7, v23
	s_waitcnt vmcnt(0) lgkmcnt(0)
	v_lshlrev_b32_e32 v36, 2, v16
	v_lshlrev_b32_e32 v37, 2, v17
	v_lshlrev_b32_e32 v38, 2, v14
	v_lshlrev_b32_e32 v18, 2, v15
	s_barrier
	buffer_gl0_inv
	v_lshrrev_b32_e32 v14, 16, v8
	v_lshrrev_b32_e32 v16, 16, v11
	v_lshrrev_b32_e32 v35, 16, v12
	v_lshrrev_b32_e32 v40, 16, v13
	v_lshrrev_b32_e32 v17, 16, v9
	v_lshrrev_b32_e32 v39, 16, v10
	v_mul_f16_sdwa v41, v16, v31 dst_sel:DWORD dst_unused:UNUSED_PAD src0_sel:DWORD src1_sel:WORD_1
	v_mul_f16_sdwa v42, v11, v31 dst_sel:DWORD dst_unused:UNUSED_PAD src0_sel:DWORD src1_sel:WORD_1
	v_mul_f16_sdwa v43, v35, v31 dst_sel:DWORD dst_unused:UNUSED_PAD src0_sel:DWORD src1_sel:WORD_1
	v_mul_f16_sdwa v44, v12, v31 dst_sel:DWORD dst_unused:UNUSED_PAD src0_sel:DWORD src1_sel:WORD_1
	v_mul_f16_sdwa v45, v40, v31 dst_sel:DWORD dst_unused:UNUSED_PAD src0_sel:DWORD src1_sel:WORD_1
	v_mul_f16_sdwa v46, v13, v31 dst_sel:DWORD dst_unused:UNUSED_PAD src0_sel:DWORD src1_sel:WORD_1
	v_fma_f16 v11, v11, v31, -v41
	v_fmac_f16_e32 v42, v16, v31
	v_fma_f16 v12, v12, v31, -v43
	v_fmac_f16_e32 v44, v35, v31
	v_fma_f16 v13, v13, v31, -v45
	v_fmac_f16_e32 v46, v40, v31
	v_sub_f16_e32 v11, v8, v11
	v_sub_f16_e32 v16, v14, v42
	v_sub_f16_e32 v12, v9, v12
	v_sub_f16_e32 v35, v17, v44
	v_sub_f16_e32 v13, v10, v13
	v_sub_f16_e32 v40, v39, v46
	v_fma_f16 v8, v8, 2.0, -v11
	v_fma_f16 v14, v14, 2.0, -v16
	v_fma_f16 v9, v9, 2.0, -v12
	v_fma_f16 v17, v17, 2.0, -v35
	v_fma_f16 v10, v10, 2.0, -v13
	v_fma_f16 v39, v39, 2.0, -v40
	v_pack_b32_f16 v11, v11, v16
	v_pack_b32_f16 v8, v8, v14
	v_pack_b32_f16 v12, v12, v35
	v_pack_b32_f16 v9, v9, v17
	v_pack_b32_f16 v13, v13, v40
	v_pack_b32_f16 v10, v10, v39
	ds_write2_b32 v36, v8, v11 offset1:4
	ds_write2_b32 v37, v9, v12 offset1:4
	ds_write2_b32 v38, v10, v13 offset1:4
	s_waitcnt lgkmcnt(0)
	s_barrier
	buffer_gl0_inv
	global_load_dword v35, v18, s[2:3] offset:24
	ds_read2_b32 v[8:9], v22 offset1:224
	ds_read2_b32 v[10:11], v2 offset1:224
	ds_read2_b32 v[12:13], v1 offset1:224
	v_and_or_b32 v16, 0x1f0, v3, v15
	v_and_or_b32 v17, 0x3f0, v7, v15
	v_and_or_b32 v15, 0x7f0, v53, v15
	v_and_b32_e32 v14, 15, v23
	s_waitcnt vmcnt(0) lgkmcnt(0)
	v_lshlrev_b32_e32 v40, 2, v16
	v_lshlrev_b32_e32 v41, 2, v17
	v_lshlrev_b32_e32 v42, 2, v15
	v_lshlrev_b32_e32 v18, 2, v14
	s_barrier
	buffer_gl0_inv
	;; [unrolled: 57-line block ×3, first 2 shown]
	v_and_or_b32 v7, 0x3c0, v7, v15
	v_and_or_b32 v3, 0x1c0, v3, v15
	v_lshrrev_b32_e32 v14, 16, v8
	v_lshrrev_b32_e32 v16, 16, v11
	;; [unrolled: 1-line block ×6, first 2 shown]
	v_mul_f16_sdwa v49, v16, v39 dst_sel:DWORD dst_unused:UNUSED_PAD src0_sel:DWORD src1_sel:WORD_1
	v_mul_f16_sdwa v50, v11, v39 dst_sel:DWORD dst_unused:UNUSED_PAD src0_sel:DWORD src1_sel:WORD_1
	;; [unrolled: 1-line block ×6, first 2 shown]
	v_fma_f16 v11, v11, v39, -v49
	v_fmac_f16_e32 v50, v16, v39
	v_fma_f16 v12, v12, v39, -v51
	v_fmac_f16_e32 v54, v43, v39
	;; [unrolled: 2-line block ×3, first 2 shown]
	v_sub_f16_e32 v11, v8, v11
	v_sub_f16_e32 v16, v14, v50
	;; [unrolled: 1-line block ×6, first 2 shown]
	v_fma_f16 v8, v8, 2.0, -v11
	v_fma_f16 v14, v14, 2.0, -v16
	;; [unrolled: 1-line block ×6, first 2 shown]
	v_pack_b32_f16 v11, v11, v16
	v_pack_b32_f16 v8, v8, v14
	;; [unrolled: 1-line block ×6, first 2 shown]
	ds_write2_b32 v44, v8, v11 offset1:16
	ds_write2_b32 v45, v9, v12 offset1:16
	ds_write2_b32 v46, v10, v13 offset1:16
	s_waitcnt lgkmcnt(0)
	s_barrier
	buffer_gl0_inv
	global_load_dword v43, v18, s[2:3] offset:120
	ds_read2_b32 v[8:9], v22 offset1:224
	ds_read2_b32 v[10:11], v2 offset1:224
	;; [unrolled: 1-line block ×3, first 2 shown]
	v_and_or_b32 v14, 0x7c0, v53, v15
	v_lshlrev_b32_e32 v48, 2, v7
	v_and_b32_e32 v16, 63, v23
	v_and_b32_e32 v17, 63, v52
	v_lshlrev_b32_e32 v47, 2, v3
	v_lshlrev_b32_e32 v49, 2, v14
	s_waitcnt vmcnt(0) lgkmcnt(0)
	v_lshlrev_b32_e32 v15, 3, v16
	v_lshlrev_b32_e32 v3, 3, v17
	s_barrier
	buffer_gl0_inv
	v_lshrrev_b32_e32 v7, 16, v8
	v_lshrrev_b32_e32 v14, 16, v11
	;; [unrolled: 1-line block ×6, first 2 shown]
	v_mul_f16_sdwa v55, v11, v43 dst_sel:DWORD dst_unused:UNUSED_PAD src0_sel:DWORD src1_sel:WORD_1
	v_mul_f16_sdwa v56, v14, v43 dst_sel:DWORD dst_unused:UNUSED_PAD src0_sel:DWORD src1_sel:WORD_1
	;; [unrolled: 1-line block ×6, first 2 shown]
	v_fmac_f16_e32 v55, v14, v43
	v_fma_f16 v11, v11, v43, -v56
	v_fmac_f16_e32 v58, v18, v43
	v_fma_f16 v12, v12, v43, -v57
	v_fma_f16 v13, v13, v43, -v59
	v_fmac_f16_e32 v60, v51, v43
	v_sub_f16_e32 v11, v8, v11
	v_sub_f16_e32 v14, v7, v55
	;; [unrolled: 1-line block ×6, first 2 shown]
	v_fma_f16 v8, v8, 2.0, -v11
	v_fma_f16 v7, v7, 2.0, -v14
	v_fma_f16 v9, v9, 2.0, -v12
	v_fma_f16 v50, v50, 2.0, -v18
	v_fma_f16 v10, v10, 2.0, -v13
	v_fma_f16 v54, v54, 2.0, -v51
	v_pack_b32_f16 v11, v11, v14
	v_pack_b32_f16 v7, v8, v7
	v_pack_b32_f16 v12, v12, v18
	v_pack_b32_f16 v8, v9, v50
	v_pack_b32_f16 v13, v13, v51
	v_pack_b32_f16 v9, v10, v54
	ds_write2_b32 v47, v7, v11 offset1:32
	ds_write2_b32 v48, v8, v12 offset1:32
	;; [unrolled: 1-line block ×3, first 2 shown]
	s_waitcnt lgkmcnt(0)
	s_barrier
	buffer_gl0_inv
	s_clause 0x1
	global_load_dwordx2 v[9:10], v15, s[2:3] offset:248
	global_load_dwordx2 v[7:8], v3, s[2:3] offset:248
	ds_read2_b32 v[2:3], v2 offset1:224
	ds_read2_b32 v[13:14], v22 offset1:224
	;; [unrolled: 1-line block ×3, first 2 shown]
	v_lshrrev_b32_e32 v15, 6, v23
	v_lshrrev_b32_e32 v18, 6, v52
	s_waitcnt vmcnt(0) lgkmcnt(0)
	s_barrier
	buffer_gl0_inv
	v_mul_u32_u24_e32 v1, 0xc0, v15
	v_mul_u32_u24_e32 v15, 0xc0, v18
	v_or_b32_e32 v1, v1, v16
	v_or_b32_e32 v15, v15, v17
	v_lshlrev_b32_e32 v51, 2, v1
	v_lshlrev_b32_e32 v50, 2, v15
	v_lshrrev_b32_e32 v0, 16, v2
	v_lshrrev_b32_e32 v15, 16, v11
	;; [unrolled: 1-line block ×6, first 2 shown]
	v_mul_f16_sdwa v17, v0, v9 dst_sel:DWORD dst_unused:UNUSED_PAD src0_sel:DWORD src1_sel:WORD_1
	v_mul_f16_sdwa v54, v2, v9 dst_sel:DWORD dst_unused:UNUSED_PAD src0_sel:DWORD src1_sel:WORD_1
	;; [unrolled: 1-line block ×8, first 2 shown]
	v_fma_f16 v2, v2, v9, -v17
	v_fmac_f16_e32 v54, v0, v9
	v_fma_f16 v0, v11, v10, -v57
	v_fmac_f16_e32 v58, v15, v10
	;; [unrolled: 2-line block ×4, first 2 shown]
	v_add_f16_e32 v11, v2, v0
	v_add_f16_e32 v16, v54, v58
	;; [unrolled: 1-line block ×5, first 2 shown]
	v_sub_f16_e32 v60, v54, v58
	v_add_f16_e32 v62, v13, v2
	v_sub_f16_e32 v2, v2, v0
	v_fma_f16 v17, -0.5, v11, v13
	v_fmac_f16_e32 v56, -0.5, v16
	v_add_f16_e32 v12, v14, v3
	v_sub_f16_e32 v3, v3, v1
	v_add_f16_e32 v63, v55, v59
	v_sub_f16_e32 v65, v59, v61
	v_fmac_f16_e32 v14, -0.5, v57
	v_fmac_f16_e32 v55, -0.5, v64
	v_add_f16_e32 v54, v15, v58
	v_add_f16_e32 v15, v62, v0
	v_fmamk_f16 v16, v60, 0x3aee, v17
	v_fmamk_f16 v59, v2, 0xbaee, v56
	v_fmac_f16_e32 v17, 0xbaee, v60
	v_fmac_f16_e32 v56, 0x3aee, v2
	v_add_f16_e32 v18, v12, v1
	v_add_f16_e32 v57, v63, v61
	v_fmamk_f16 v13, v65, 0x3aee, v14
	v_fmamk_f16 v58, v3, 0xbaee, v55
	v_fmac_f16_e32 v14, 0xbaee, v65
	v_fmac_f16_e32 v55, 0x3aee, v3
	v_pack_b32_f16 v0, v15, v54
	v_pack_b32_f16 v2, v16, v59
	;; [unrolled: 1-line block ×6, first 2 shown]
	ds_write2st64_b32 v51, v0, v2 offset1:1
	ds_write_b32 v51, v3 offset:512
	ds_write2st64_b32 v50, v1, v11 offset1:1
	ds_write_b32 v50, v12 offset:512
	s_waitcnt lgkmcnt(0)
	s_barrier
	buffer_gl0_inv
                                        ; implicit-def: $vgpr60
                                        ; implicit-def: $vgpr61
	s_and_saveexec_b32 s0, vcc_lo
	s_cbranch_execz .LBB0_3
; %bb.2:
	ds_read2st64_b32 v[15:16], v22 offset1:3
	ds_read2st64_b32 v[17:18], v22 offset0:6 offset1:9
	ds_read2st64_b32 v[13:14], v22 offset0:12 offset1:15
	ds_read_b32 v60, v22 offset:4608
	s_waitcnt lgkmcnt(3)
	v_lshrrev_b32_e32 v54, 16, v15
	v_lshrrev_b32_e32 v59, 16, v16
	s_waitcnt lgkmcnt(2)
	v_lshrrev_b32_e32 v56, 16, v17
	v_lshrrev_b32_e32 v57, 16, v18
	s_waitcnt lgkmcnt(1)
	v_lshrrev_b32_e32 v58, 16, v13
	v_lshrrev_b32_e32 v55, 16, v14
	s_waitcnt lgkmcnt(0)
	v_lshrrev_b32_e32 v61, 16, v60
.LBB0_3:
	s_or_b32 exec_lo, exec_lo, s0
	v_add_nc_u32_e32 v0, 0xffffff40, v23
	v_cndmask_b32_e32 v0, v0, v23, vcc_lo
	v_mul_i32_i24_e32 v1, 24, v0
	v_mul_hi_i32_i24_e32 v0, 24, v0
	v_add_co_u32 v11, s0, s2, v1
	v_add_co_ci_u32_e64 v12, s0, s3, v0, s0
	s_clause 0x1
	global_load_dwordx4 v[0:3], v[11:12], off offset:760
	global_load_dwordx2 v[11:12], v[11:12], off offset:776
	s_waitcnt vmcnt(1)
	v_mul_f16_sdwa v62, v59, v0 dst_sel:DWORD dst_unused:UNUSED_PAD src0_sel:DWORD src1_sel:WORD_1
	v_mul_f16_sdwa v63, v16, v0 dst_sel:DWORD dst_unused:UNUSED_PAD src0_sel:DWORD src1_sel:WORD_1
	;; [unrolled: 1-line block ×4, first 2 shown]
	s_waitcnt vmcnt(0)
	v_mul_f16_sdwa v70, v55, v11 dst_sel:DWORD dst_unused:UNUSED_PAD src0_sel:DWORD src1_sel:WORD_1
	v_mul_f16_sdwa v71, v14, v11 dst_sel:DWORD dst_unused:UNUSED_PAD src0_sel:DWORD src1_sel:WORD_1
	;; [unrolled: 1-line block ×8, first 2 shown]
	v_fma_f16 v16, v16, v0, -v62
	v_fmac_f16_e32 v63, v59, v0
	v_fma_f16 v17, v17, v1, -v64
	v_fmac_f16_e32 v66, v56, v1
	;; [unrolled: 2-line block ×6, first 2 shown]
	v_add_f16_e32 v55, v16, v56
	v_add_f16_e32 v59, v63, v73
	;; [unrolled: 1-line block ×4, first 2 shown]
	v_sub_f16_e32 v62, v16, v56
	v_sub_f16_e32 v56, v63, v73
	;; [unrolled: 1-line block ×4, first 2 shown]
	v_add_f16_e32 v14, v18, v13
	v_add_f16_e32 v16, v67, v69
	v_sub_f16_e32 v13, v13, v18
	v_sub_f16_e32 v17, v69, v67
	v_add_f16_e32 v18, v57, v55
	v_add_f16_e32 v60, v61, v59
	v_sub_f16_e32 v63, v55, v14
	v_sub_f16_e32 v64, v59, v16
	;; [unrolled: 1-line block ×3, first 2 shown]
	v_add_f16_e32 v67, v13, v65
	v_add_f16_e32 v68, v17, v58
	v_sub_f16_e32 v73, v13, v65
	v_sub_f16_e32 v66, v17, v58
	;; [unrolled: 1-line block ×4, first 2 shown]
	v_add_f16_e32 v14, v14, v18
	v_add_f16_e32 v18, v16, v60
	v_sub_f16_e32 v72, v16, v61
	v_add_f16_e32 v76, v68, v56
	v_mul_f16_e32 v68, 0x3a52, v63
	v_mul_f16_e32 v69, 0x3a52, v64
	;; [unrolled: 1-line block ×4, first 2 shown]
	v_add_f16_e32 v15, v15, v14
	v_add_f16_e32 v16, v54, v18
	v_add_f16_e32 v75, v67, v62
	v_fmamk_f16 v13, v74, 0x2b26, v68
	v_fmamk_f16 v17, v72, 0x2b26, v69
	;; [unrolled: 1-line block ×6, first 2 shown]
	v_lshlrev_b32_e32 v18, 3, v52
	v_fmac_f16_e32 v54, 0x370e, v75
	v_fmac_f16_e32 v60, 0x370e, v76
	v_add_f16_e32 v64, v13, v63
	v_add_f16_e32 v67, v17, v71
	v_lshlrev_b32_e32 v17, 2, v53
	v_sub_f16_e32 v13, v64, v60
	v_add_f16_e32 v14, v54, v67
	s_and_saveexec_b32 s0, vcc_lo
	s_cbranch_execz .LBB0_5
; %bb.4:
	v_sub_f16_e32 v53, v65, v62
	v_mul_f16_e32 v62, 0x2b26, v72
	v_mul_f16_e32 v73, 0xb846, v73
	v_sub_f16_e32 v59, v61, v59
	v_mul_f16_e32 v52, 0x2b26, v74
	v_sub_f16_e32 v55, v57, v55
	v_sub_f16_e32 v56, v58, v56
	v_mul_f16_e32 v57, 0xb846, v66
	v_mul_f16_e32 v65, 0x370e, v75
	v_fma_f16 v74, v53, 0xbb00, -v77
	v_fma_f16 v61, v59, 0xb9e0, -v69
	;; [unrolled: 1-line block ×4, first 2 shown]
	v_mul_f16_e32 v72, 0x370e, v76
	v_fma_f16 v66, v55, 0xb9e0, -v68
	v_fma_f16 v68, v56, 0xbb00, -v70
	;; [unrolled: 1-line block ×4, first 2 shown]
	v_add_f16_e32 v59, v59, v71
	v_add_f16_e32 v53, v65, v53
	v_add_f16_e32 v58, v65, v74
	v_add_f16_e32 v61, v61, v71
	v_add_f16_e32 v62, v66, v63
	v_add_f16_e32 v66, v72, v68
	v_add_f16_e32 v56, v72, v56
	v_add_f16_e32 v52, v52, v63
	v_sub_f16_e32 v65, v59, v53
	v_add_f16_e32 v53, v53, v59
	v_sub_f16_e32 v54, v67, v54
	v_add_f16_e32 v59, v60, v64
	v_add_f16_e32 v55, v58, v61
	v_sub_f16_e32 v58, v61, v58
	v_add_f16_e32 v60, v66, v62
	v_sub_f16_e32 v61, v52, v56
	v_sub_f16_e32 v57, v62, v66
	v_add_f16_e32 v52, v56, v52
	v_perm_b32 v15, v16, v15, 0x5040100
	v_pack_b32_f16 v16, v59, v54
	v_pack_b32_f16 v54, v60, v58
	;; [unrolled: 1-line block ×5, first 2 shown]
	v_perm_b32 v56, v14, v13, 0x5040100
	ds_write2st64_b32 v22, v15, v16 offset1:3
	ds_write2st64_b32 v22, v54, v53 offset0:6 offset1:9
	ds_write2st64_b32 v22, v52, v55 offset0:12 offset1:15
	ds_write_b32 v22, v56 offset:4608
.LBB0_5:
	s_or_b32 exec_lo, exec_lo, s0
	s_waitcnt lgkmcnt(0)
	s_barrier
	buffer_gl0_inv
	global_load_dword v52, v[5:6], off offset:1280
	v_add_co_u32 v5, s0, 0x1500, v28
	v_add_co_ci_u32_e64 v6, s0, 0, v29, s0
	v_add_co_u32 v15, s0, 0x1800, v28
	v_add_co_ci_u32_e64 v16, s0, 0, v29, s0
	global_load_dword v54, v[5:6], off offset:896
	v_add_co_u32 v28, s0, 0x2000, v28
	v_add_co_ci_u32_e64 v29, s0, 0, v29, s0
	s_clause 0x3
	global_load_dword v55, v[15:16], off offset:1920
	global_load_dword v56, v[28:29], off offset:768
	;; [unrolled: 1-line block ×4, first 2 shown]
	ds_read2_b32 v[5:6], v22 offset1:224
	v_add_nc_u32_e32 v61, 0xa80, v22
	v_add_nc_u32_e32 v62, 0x380, v22
	s_waitcnt lgkmcnt(0)
	v_lshrrev_b32_e32 v15, 16, v5
	s_waitcnt vmcnt(5)
	v_mul_f16_sdwa v16, v15, v52 dst_sel:DWORD dst_unused:UNUSED_PAD src0_sel:DWORD src1_sel:WORD_1
	v_mul_f16_sdwa v28, v5, v52 dst_sel:DWORD dst_unused:UNUSED_PAD src0_sel:DWORD src1_sel:WORD_1
	v_fma_f16 v5, v5, v52, -v16
	v_fmac_f16_e32 v28, v15, v52
	v_add_nc_u32_e32 v16, 0x700, v22
	v_add_nc_u32_e32 v15, 0xe00, v22
	s_waitcnt vmcnt(4)
	v_mul_f16_sdwa v60, v6, v54 dst_sel:DWORD dst_unused:UNUSED_PAD src0_sel:DWORD src1_sel:WORD_1
	v_pack_b32_f16 v5, v5, v28
	ds_write_b32 v22, v5
	ds_read2_b32 v[28:29], v16 offset1:224
	ds_read2_b32 v[52:53], v15 offset1:224
	v_lshrrev_b32_e32 v5, 16, v6
	v_mul_f16_sdwa v59, v5, v54 dst_sel:DWORD dst_unused:UNUSED_PAD src0_sel:DWORD src1_sel:WORD_1
	v_fmac_f16_e32 v60, v5, v54
	v_fma_f16 v6, v6, v54, -v59
	v_pack_b32_f16 v6, v6, v60
	s_waitcnt lgkmcnt(1)
	v_lshrrev_b32_e32 v5, 16, v29
	s_waitcnt vmcnt(3)
	v_mul_f16_sdwa v54, v29, v55 dst_sel:DWORD dst_unused:UNUSED_PAD src0_sel:DWORD src1_sel:WORD_1
	s_waitcnt lgkmcnt(0)
	v_lshrrev_b32_e32 v59, 16, v52
	s_waitcnt vmcnt(2)
	v_mul_f16_sdwa v63, v52, v56 dst_sel:DWORD dst_unused:UNUSED_PAD src0_sel:DWORD src1_sel:WORD_1
	v_lshrrev_b32_e32 v64, 16, v28
	s_waitcnt vmcnt(0)
	v_mul_f16_sdwa v65, v28, v58 dst_sel:DWORD dst_unused:UNUSED_PAD src0_sel:DWORD src1_sel:WORD_1
	v_lshrrev_b32_e32 v66, 16, v53
	v_mul_f16_sdwa v68, v5, v55 dst_sel:DWORD dst_unused:UNUSED_PAD src0_sel:DWORD src1_sel:WORD_1
	v_fmac_f16_e32 v54, v5, v55
	v_mul_f16_sdwa v5, v59, v56 dst_sel:DWORD dst_unused:UNUSED_PAD src0_sel:DWORD src1_sel:WORD_1
	v_fmac_f16_e32 v63, v59, v56
	v_mul_f16_sdwa v59, v64, v58 dst_sel:DWORD dst_unused:UNUSED_PAD src0_sel:DWORD src1_sel:WORD_1
	v_mul_f16_sdwa v67, v53, v57 dst_sel:DWORD dst_unused:UNUSED_PAD src0_sel:DWORD src1_sel:WORD_1
	v_fmac_f16_e32 v65, v64, v58
	v_mul_f16_sdwa v64, v66, v57 dst_sel:DWORD dst_unused:UNUSED_PAD src0_sel:DWORD src1_sel:WORD_1
	v_fma_f16 v29, v29, v55, -v68
	v_fma_f16 v5, v52, v56, -v5
	;; [unrolled: 1-line block ×3, first 2 shown]
	v_fmac_f16_e32 v67, v66, v57
	v_fma_f16 v52, v53, v57, -v64
	v_pack_b32_f16 v29, v29, v54
	v_pack_b32_f16 v5, v5, v63
	;; [unrolled: 1-line block ×4, first 2 shown]
	ds_write2_b32 v61, v29, v5 offset1:224
	ds_write2_b32 v62, v6, v28 offset1:224
	ds_write_b32 v22, v52 offset:4480
	s_waitcnt lgkmcnt(0)
	s_barrier
	buffer_gl0_inv
	ds_read2_b32 v[5:6], v22 offset1:224
	ds_read2_b32 v[28:29], v16 offset1:224
	;; [unrolled: 1-line block ×3, first 2 shown]
	s_waitcnt lgkmcnt(0)
	s_barrier
	buffer_gl0_inv
	v_pk_add_f16 v54, v5, v29 neg_lo:[0,1] neg_hi:[0,1]
	v_pk_add_f16 v56, v6, v52 neg_lo:[0,1] neg_hi:[0,1]
	;; [unrolled: 1-line block ×3, first 2 shown]
	v_pk_fma_f16 v53, v5, 2.0, v54 op_sel_hi:[1,0,1] neg_lo:[0,0,1] neg_hi:[0,0,1]
	v_pk_fma_f16 v55, v6, 2.0, v56 op_sel_hi:[1,0,1] neg_lo:[0,0,1] neg_hi:[0,0,1]
	;; [unrolled: 1-line block ×3, first 2 shown]
	ds_write_b64 v30, v[53:54]
	ds_write_b64 v18, v[55:56]
	ds_write_b64 v17, v[28:29]
	s_waitcnt lgkmcnt(0)
	s_barrier
	buffer_gl0_inv
	ds_read2_b32 v[5:6], v22 offset1:224
	ds_read2_b32 v[17:18], v16 offset1:224
	ds_read2_b32 v[28:29], v15 offset1:224
	s_waitcnt lgkmcnt(0)
	s_barrier
	buffer_gl0_inv
	v_lshrrev_b32_e32 v30, 16, v5
	v_lshrrev_b32_e32 v52, 16, v18
	v_lshrrev_b32_e32 v54, 16, v28
	v_mul_f16_sdwa v56, v27, v18 dst_sel:DWORD dst_unused:UNUSED_PAD src0_sel:WORD_1 src1_sel:DWORD
	v_lshrrev_b32_e32 v57, 16, v29
	v_mul_f16_sdwa v58, v27, v28 dst_sel:DWORD dst_unused:UNUSED_PAD src0_sel:WORD_1 src1_sel:DWORD
	v_mul_f16_sdwa v60, v27, v52 dst_sel:DWORD dst_unused:UNUSED_PAD src0_sel:WORD_1 src1_sel:DWORD
	v_mul_f16_sdwa v59, v27, v29 dst_sel:DWORD dst_unused:UNUSED_PAD src0_sel:WORD_1 src1_sel:DWORD
	v_fma_f16 v52, v27, v52, -v56
	v_mul_f16_sdwa v56, v27, v54 dst_sel:DWORD dst_unused:UNUSED_PAD src0_sel:WORD_1 src1_sel:DWORD
	v_fma_f16 v54, v27, v54, -v58
	v_mul_f16_sdwa v58, v27, v57 dst_sel:DWORD dst_unused:UNUSED_PAD src0_sel:WORD_1 src1_sel:DWORD
	v_fmac_f16_e32 v60, v27, v18
	v_lshrrev_b32_e32 v53, 16, v6
	v_fmac_f16_e32 v56, v27, v28
	v_lshrrev_b32_e32 v55, 16, v17
	v_fma_f16 v57, v27, v57, -v59
	v_fmac_f16_e32 v58, v27, v29
	v_sub_f16_e32 v18, v30, v52
	v_sub_f16_e32 v29, v5, v60
	v_sub_f16_e32 v27, v53, v54
	v_sub_f16_e32 v52, v6, v56
	v_sub_f16_e32 v28, v55, v57
	v_sub_f16_e32 v54, v17, v58
	v_fma_f16 v30, v30, 2.0, -v18
	v_fma_f16 v5, v5, 2.0, -v29
	v_fma_f16 v53, v53, 2.0, -v27
	v_fma_f16 v6, v6, 2.0, -v52
	v_fma_f16 v55, v55, 2.0, -v28
	v_fma_f16 v17, v17, 2.0, -v54
	v_pack_b32_f16 v18, v29, v18
	v_pack_b32_f16 v5, v5, v30
	v_pack_b32_f16 v27, v52, v27
	v_pack_b32_f16 v6, v6, v53
	v_pack_b32_f16 v28, v54, v28
	v_pack_b32_f16 v17, v17, v55
	ds_write2_b32 v32, v5, v18 offset1:2
	ds_write2_b32 v33, v6, v27 offset1:2
	ds_write2_b32 v34, v17, v28 offset1:2
	s_waitcnt lgkmcnt(0)
	s_barrier
	buffer_gl0_inv
	ds_read2_b32 v[5:6], v22 offset1:224
	ds_read2_b32 v[17:18], v16 offset1:224
	ds_read2_b32 v[27:28], v15 offset1:224
	s_waitcnt lgkmcnt(0)
	s_barrier
	buffer_gl0_inv
	v_lshrrev_b32_e32 v29, 16, v5
	v_lshrrev_b32_e32 v30, 16, v18
	v_lshrrev_b32_e32 v33, 16, v27
	v_mul_f16_sdwa v52, v31, v18 dst_sel:DWORD dst_unused:UNUSED_PAD src0_sel:WORD_1 src1_sel:DWORD
	v_lshrrev_b32_e32 v53, 16, v28
	v_mul_f16_sdwa v54, v31, v27 dst_sel:DWORD dst_unused:UNUSED_PAD src0_sel:WORD_1 src1_sel:DWORD
	v_mul_f16_sdwa v56, v31, v30 dst_sel:DWORD dst_unused:UNUSED_PAD src0_sel:WORD_1 src1_sel:DWORD
	v_mul_f16_sdwa v55, v31, v28 dst_sel:DWORD dst_unused:UNUSED_PAD src0_sel:WORD_1 src1_sel:DWORD
	v_fma_f16 v30, v31, v30, -v52
	v_mul_f16_sdwa v52, v31, v33 dst_sel:DWORD dst_unused:UNUSED_PAD src0_sel:WORD_1 src1_sel:DWORD
	v_fma_f16 v33, v31, v33, -v54
	v_mul_f16_sdwa v54, v31, v53 dst_sel:DWORD dst_unused:UNUSED_PAD src0_sel:WORD_1 src1_sel:DWORD
	v_fmac_f16_e32 v56, v31, v18
	v_lshrrev_b32_e32 v32, 16, v6
	v_fmac_f16_e32 v52, v31, v27
	v_lshrrev_b32_e32 v34, 16, v17
	v_fma_f16 v53, v31, v53, -v55
	v_fmac_f16_e32 v54, v31, v28
	v_sub_f16_e32 v18, v29, v30
	v_sub_f16_e32 v30, v5, v56
	v_sub_f16_e32 v27, v32, v33
	v_sub_f16_e32 v31, v6, v52
	v_sub_f16_e32 v28, v34, v53
	v_sub_f16_e32 v33, v17, v54
	v_fma_f16 v29, v29, 2.0, -v18
	v_fma_f16 v5, v5, 2.0, -v30
	v_fma_f16 v32, v32, 2.0, -v27
	v_fma_f16 v6, v6, 2.0, -v31
	v_fma_f16 v34, v34, 2.0, -v28
	v_fma_f16 v17, v17, 2.0, -v33
	v_pack_b32_f16 v18, v30, v18
	v_pack_b32_f16 v5, v5, v29
	v_pack_b32_f16 v27, v31, v27
	v_pack_b32_f16 v6, v6, v32
	v_pack_b32_f16 v28, v33, v28
	v_pack_b32_f16 v17, v17, v34
	ds_write2_b32 v36, v5, v18 offset1:4
	ds_write2_b32 v37, v6, v27 offset1:4
	ds_write2_b32 v38, v17, v28 offset1:4
	;; [unrolled: 48-line block ×5, first 2 shown]
	s_waitcnt lgkmcnt(0)
	s_barrier
	buffer_gl0_inv
	ds_read2_b32 v[5:6], v22 offset1:224
	ds_read2_b32 v[17:18], v16 offset1:224
	;; [unrolled: 1-line block ×3, first 2 shown]
	s_waitcnt lgkmcnt(0)
	s_barrier
	buffer_gl0_inv
	v_lshrrev_b32_e32 v16, 16, v6
	v_lshrrev_b32_e32 v29, 16, v17
	;; [unrolled: 1-line block ×3, first 2 shown]
	v_mul_f16_sdwa v33, v9, v17 dst_sel:DWORD dst_unused:UNUSED_PAD src0_sel:WORD_1 src1_sel:DWORD
	v_lshrrev_b32_e32 v31, 16, v18
	v_lshrrev_b32_e32 v32, 16, v28
	v_mul_f16_sdwa v34, v10, v27 dst_sel:DWORD dst_unused:UNUSED_PAD src0_sel:WORD_1 src1_sel:DWORD
	v_mul_f16_sdwa v35, v7, v18 dst_sel:DWORD dst_unused:UNUSED_PAD src0_sel:WORD_1 src1_sel:DWORD
	;; [unrolled: 1-line block ×3, first 2 shown]
	v_fma_f16 v29, v9, v29, -v33
	v_mul_f16_sdwa v33, v10, v30 dst_sel:DWORD dst_unused:UNUSED_PAD src0_sel:WORD_1 src1_sel:DWORD
	v_mul_f16_sdwa v36, v8, v28 dst_sel:DWORD dst_unused:UNUSED_PAD src0_sel:WORD_1 src1_sel:DWORD
	v_fma_f16 v30, v10, v30, -v34
	v_mul_f16_sdwa v34, v7, v31 dst_sel:DWORD dst_unused:UNUSED_PAD src0_sel:WORD_1 src1_sel:DWORD
	v_fma_f16 v31, v7, v31, -v35
	v_mul_f16_sdwa v35, v8, v32 dst_sel:DWORD dst_unused:UNUSED_PAD src0_sel:WORD_1 src1_sel:DWORD
	v_fmac_f16_e32 v37, v9, v17
	v_fmac_f16_e32 v33, v10, v27
	v_lshrrev_b32_e32 v15, 16, v5
	v_fma_f16 v32, v8, v32, -v36
	v_fmac_f16_e32 v34, v7, v18
	v_fmac_f16_e32 v35, v8, v28
	v_add_f16_e32 v8, v29, v30
	v_add_f16_e32 v9, v16, v31
	;; [unrolled: 1-line block ×3, first 2 shown]
	v_sub_f16_e32 v36, v29, v30
	v_add_f16_e32 v7, v15, v29
	v_sub_f16_e32 v29, v31, v32
	v_add_f16_e32 v10, v31, v32
	v_add_f16_e32 v31, v34, v35
	;; [unrolled: 1-line block ×3, first 2 shown]
	v_fmac_f16_e32 v15, -0.5, v8
	v_sub_f16_e32 v8, v37, v33
	v_add_f16_e32 v18, v9, v32
	v_fma_f16 v9, -0.5, v28, v5
	v_add_f16_e32 v17, v7, v30
	v_add_f16_e32 v30, v6, v34
	v_fmac_f16_e32 v16, -0.5, v10
	v_sub_f16_e32 v32, v34, v35
	v_fmac_f16_e32 v6, -0.5, v31
	v_add_f16_e32 v7, v27, v33
	v_fmamk_f16 v28, v8, 0x3aee, v15
	v_fmac_f16_e32 v15, 0xbaee, v8
	v_fmamk_f16 v8, v36, 0xbaee, v9
	v_fmac_f16_e32 v9, 0x3aee, v36
	v_add_f16_e32 v10, v30, v35
	v_fmamk_f16 v27, v32, 0x3aee, v16
	v_fmamk_f16 v5, v29, 0xbaee, v6
	v_fmac_f16_e32 v16, 0xbaee, v32
	v_fmac_f16_e32 v6, 0x3aee, v29
	v_pack_b32_f16 v29, v7, v17
	v_pack_b32_f16 v31, v8, v28
	v_pack_b32_f16 v32, v9, v15
	v_pack_b32_f16 v30, v10, v18
	v_pack_b32_f16 v33, v5, v27
	v_pack_b32_f16 v34, v6, v16
	ds_write2st64_b32 v51, v29, v31 offset1:1
	ds_write_b32 v51, v32 offset:512
	ds_write2st64_b32 v50, v30, v33 offset1:1
	ds_write_b32 v50, v34 offset:512
	s_waitcnt lgkmcnt(0)
	s_barrier
	buffer_gl0_inv
	s_and_saveexec_b32 s0, vcc_lo
	s_cbranch_execz .LBB0_7
; %bb.6:
	ds_read2st64_b32 v[7:8], v22 offset1:3
	ds_read2st64_b32 v[9:10], v22 offset0:6 offset1:9
	ds_read2st64_b32 v[5:6], v22 offset0:12 offset1:15
	ds_read_b32 v13, v22 offset:4608
	s_waitcnt lgkmcnt(3)
	v_lshrrev_b32_e32 v17, 16, v7
	v_lshrrev_b32_e32 v28, 16, v8
	s_waitcnt lgkmcnt(2)
	v_lshrrev_b32_e32 v15, 16, v9
	v_lshrrev_b32_e32 v18, 16, v10
	;; [unrolled: 3-line block ×3, first 2 shown]
	s_waitcnt lgkmcnt(0)
	v_lshrrev_b32_e32 v14, 16, v13
.LBB0_7:
	s_or_b32 exec_lo, exec_lo, s0
	s_and_saveexec_b32 s0, vcc_lo
	s_cbranch_execz .LBB0_9
; %bb.8:
	v_mul_f16_sdwa v31, v0, v28 dst_sel:DWORD dst_unused:UNUSED_PAD src0_sel:WORD_1 src1_sel:DWORD
	v_mul_f16_sdwa v29, v3, v27 dst_sel:DWORD dst_unused:UNUSED_PAD src0_sel:WORD_1 src1_sel:DWORD
	v_mul_f16_sdwa v32, v12, v14 dst_sel:DWORD dst_unused:UNUSED_PAD src0_sel:WORD_1 src1_sel:DWORD
	v_mul_f16_sdwa v33, v1, v15 dst_sel:DWORD dst_unused:UNUSED_PAD src0_sel:WORD_1 src1_sel:DWORD
	v_mul_f16_sdwa v34, v12, v13 dst_sel:DWORD dst_unused:UNUSED_PAD src0_sel:WORD_1 src1_sel:DWORD
	v_fmac_f16_e32 v31, v0, v8
	v_mul_f16_sdwa v8, v0, v8 dst_sel:DWORD dst_unused:UNUSED_PAD src0_sel:WORD_1 src1_sel:DWORD
	v_mul_f16_sdwa v30, v2, v18 dst_sel:DWORD dst_unused:UNUSED_PAD src0_sel:WORD_1 src1_sel:DWORD
	v_fmac_f16_e32 v29, v3, v5
	v_fmac_f16_e32 v32, v12, v13
	;; [unrolled: 1-line block ×3, first 2 shown]
	v_mul_f16_sdwa v35, v11, v16 dst_sel:DWORD dst_unused:UNUSED_PAD src0_sel:WORD_1 src1_sel:DWORD
	v_fma_f16 v12, v12, v14, -v34
	v_mul_f16_sdwa v14, v11, v6 dst_sel:DWORD dst_unused:UNUSED_PAD src0_sel:WORD_1 src1_sel:DWORD
	v_mul_f16_sdwa v9, v1, v9 dst_sel:DWORD dst_unused:UNUSED_PAD src0_sel:WORD_1 src1_sel:DWORD
	v_fma_f16 v0, v0, v28, -v8
	v_mul_f16_sdwa v8, v2, v10 dst_sel:DWORD dst_unused:UNUSED_PAD src0_sel:WORD_1 src1_sel:DWORD
	v_mul_f16_sdwa v5, v3, v5 dst_sel:DWORD dst_unused:UNUSED_PAD src0_sel:WORD_1 src1_sel:DWORD
	v_fmac_f16_e32 v30, v2, v10
	v_fma_f16 v10, v11, v16, -v14
	v_fma_f16 v1, v1, v15, -v9
	v_fmac_f16_e32 v35, v11, v6
	v_fma_f16 v2, v2, v18, -v8
	v_fma_f16 v3, v3, v27, -v5
	v_add_f16_e32 v5, v12, v0
	v_add_f16_e32 v6, v10, v1
	v_sub_f16_e32 v11, v31, v32
	v_add_f16_e32 v31, v32, v31
	v_add_f16_e32 v9, v3, v2
	;; [unrolled: 1-line block ×3, first 2 shown]
	v_sub_f16_e32 v13, v29, v30
	v_sub_f16_e32 v8, v33, v35
	v_add_f16_e32 v29, v29, v30
	v_sub_f16_e32 v2, v3, v2
	v_sub_f16_e32 v1, v1, v10
	;; [unrolled: 1-line block ×3, first 2 shown]
	v_add_f16_e32 v14, v6, v5
	v_sub_f16_e32 v16, v5, v9
	v_add_f16_e32 v30, v32, v31
	v_sub_f16_e32 v15, v13, v8
	v_sub_f16_e32 v18, v11, v13
	v_add_f16_e32 v13, v13, v8
	v_sub_f16_e32 v3, v31, v29
	v_sub_f16_e32 v12, v2, v1
	;; [unrolled: 1-line block ×3, first 2 shown]
	v_add_f16_e32 v2, v2, v1
	v_sub_f16_e32 v8, v8, v11
	v_add_f16_e32 v14, v9, v14
	v_mul_f16_e32 v16, 0x3a52, v16
	v_sub_f16_e32 v9, v9, v6
	v_add_f16_e32 v30, v29, v30
	v_mul_f16_e32 v15, 0x3846, v15
	v_mul_f16_e32 v3, 0x3a52, v3
	v_sub_f16_e32 v29, v29, v32
	v_add_f16_e32 v2, v2, v0
	v_mul_f16_e32 v35, 0xbb00, v8
	v_sub_f16_e32 v0, v1, v0
	v_add_f16_e32 v17, v17, v14
	v_fmamk_f16 v28, v9, 0x2b26, v16
	v_mul_f16_e32 v9, 0x2b26, v9
	v_add_f16_e32 v7, v7, v30
	v_mul_f16_e32 v12, 0x3846, v12
	v_sub_f16_e32 v5, v6, v5
	v_fmamk_f16 v27, v18, 0xb574, v15
	v_add_f16_e32 v13, v13, v11
	v_fmamk_f16 v11, v29, 0x2b26, v3
	v_mul_f16_e32 v29, 0x2b26, v29
	v_fma_f16 v1, v18, 0x3574, -v35
	v_sub_f16_e32 v6, v32, v31
	v_mul_f16_e32 v18, 0xbb00, v0
	v_fmamk_f16 v14, v14, 0xbcab, v17
	v_fmamk_f16 v30, v30, 0xbcab, v7
	;; [unrolled: 1-line block ×3, first 2 shown]
	v_fma_f16 v16, v5, 0xb9e0, -v16
	v_fma_f16 v5, v5, 0x39e0, -v9
	;; [unrolled: 1-line block ×7, first 2 shown]
	v_fmac_f16_e32 v27, 0xb70e, v13
	v_add_f16_e32 v28, v28, v14
	v_add_f16_e32 v11, v11, v30
	v_fmac_f16_e32 v34, 0xb70e, v2
	v_add_f16_e32 v5, v5, v14
	v_fmac_f16_e32 v8, 0xb70e, v13
	v_fmac_f16_e32 v1, 0xb70e, v13
	v_add_f16_e32 v9, v16, v14
	v_add_f16_e32 v3, v3, v30
	v_fmac_f16_e32 v18, 0xb70e, v2
	v_fmac_f16_e32 v0, 0xb70e, v2
	v_add_f16_e32 v2, v6, v30
	v_sub_f16_e32 v14, v5, v8
	v_add_f16_e32 v5, v8, v5
	v_sub_f16_e32 v6, v28, v27
	v_add_f16_e32 v8, v34, v11
	v_add_f16_e32 v12, v1, v9
	v_sub_f16_e32 v13, v3, v18
	v_sub_f16_e32 v1, v9, v1
	v_add_f16_e32 v3, v18, v3
	v_sub_f16_e32 v9, v2, v0
	v_add_f16_e32 v0, v0, v2
	v_add_f16_e32 v10, v27, v28
	v_sub_f16_e32 v31, v11, v34
	v_pack_b32_f16 v2, v7, v17
	v_pack_b32_f16 v6, v8, v6
	;; [unrolled: 1-line block ×7, first 2 shown]
	ds_write2st64_b32 v22, v2, v6 offset1:3
	ds_write2st64_b32 v22, v1, v3 offset0:6 offset1:9
	ds_write2st64_b32 v22, v0, v5 offset0:12 offset1:15
	ds_write_b32 v22, v7 offset:4608
.LBB0_9:
	s_or_b32 exec_lo, exec_lo, s0
	s_waitcnt lgkmcnt(0)
	s_barrier
	buffer_gl0_inv
	ds_read2_b32 v[2:3], v22 offset1:224
	v_add_nc_u32_e32 v0, 0x700, v22
	s_mov_b32 s6, 0x18618618
	s_mov_b32 s7, 0x3f486186
	ds_read2_b32 v[0:1], v0 offset1:224
	s_waitcnt lgkmcnt(1)
	v_lshrrev_b32_e32 v5, 16, v2
	v_mul_f16_sdwa v6, v26, v2 dst_sel:DWORD dst_unused:UNUSED_PAD src0_sel:WORD_1 src1_sel:DWORD
	v_lshrrev_b32_e32 v27, 16, v3
	v_mul_f16_sdwa v7, v26, v5 dst_sel:DWORD dst_unused:UNUSED_PAD src0_sel:WORD_1 src1_sel:DWORD
	v_fma_f16 v5, v26, v5, -v6
	s_waitcnt lgkmcnt(0)
	v_lshrrev_b32_e32 v9, 16, v1
	v_mul_f16_sdwa v8, v25, v1 dst_sel:DWORD dst_unused:UNUSED_PAD src0_sel:WORD_1 src1_sel:DWORD
	v_mul_f16_sdwa v11, v24, v27 dst_sel:DWORD dst_unused:UNUSED_PAD src0_sel:WORD_1 src1_sel:DWORD
	v_fmac_f16_e32 v7, v26, v2
	v_cvt_f32_f16_e32 v2, v5
	v_mul_f16_sdwa v12, v25, v9 dst_sel:DWORD dst_unused:UNUSED_PAD src0_sel:WORD_1 src1_sel:DWORD
	v_fmac_f16_e32 v11, v24, v3
	v_cvt_f32_f16_e32 v7, v7
	v_cvt_f64_f32_e32 v[5:6], v2
	v_fma_f16 v2, v25, v9, -v8
	v_fmac_f16_e32 v12, v25, v1
	v_cvt_f32_f16_e32 v13, v11
	v_cvt_f64_f32_e32 v[7:8], v7
	v_mad_u64_u32 v[9:10], null, s10, v4, 0
	v_cvt_f32_f16_e32 v2, v2
	v_cvt_f32_f16_e32 v15, v12
	v_cvt_f64_f32_e32 v[13:14], v13
	v_mad_u64_u32 v[11:12], null, s8, v23, 0
	v_cvt_f64_f32_e32 v[1:2], v2
	v_cvt_f64_f32_e32 v[15:16], v15
	v_mul_f16_sdwa v3, v24, v3 dst_sel:DWORD dst_unused:UNUSED_PAD src0_sel:WORD_1 src1_sel:DWORD
	v_mad_u64_u32 v[17:18], null, s11, v4, v[10:11]
	v_mul_f64 v[5:6], v[5:6], s[6:7]
	v_mul_f64 v[7:8], v[7:8], s[6:7]
	v_mov_b32_e32 v10, v17
	v_fma_f16 v17, v24, v27, -v3
	v_mad_u64_u32 v[25:26], null, s9, v23, v[12:13]
	v_lshlrev_b64 v[3:4], 2, v[9:10]
	v_mul_f64 v[1:2], v[1:2], s[6:7]
	v_mul_f64 v[9:10], v[13:14], s[6:7]
	;; [unrolled: 1-line block ×3, first 2 shown]
	v_mov_b32_e32 v12, v25
	v_and_or_b32 v5, 0x1ff, v6, v5
	v_lshrrev_b32_e32 v15, 8, v6
	v_bfe_u32 v16, v6, 20, 11
	v_lshrrev_b32_e32 v6, 16, v6
	v_and_or_b32 v7, 0x1ff, v8, v7
	v_cmp_ne_u32_e32 vcc_lo, 0, v5
	v_lshrrev_b32_e32 v18, 8, v8
	v_bfe_u32 v23, v8, 20, 11
	v_sub_nc_u32_e32 v24, 0x3f1, v16
	v_add_nc_u32_e32 v16, 0xfffffc10, v16
	v_cndmask_b32_e64 v5, 0, 1, vcc_lo
	v_cmp_ne_u32_e32 vcc_lo, 0, v7
	v_and_or_b32 v1, 0x1ff, v2, v1
	v_bfe_u32 v26, v2, 20, 11
	v_lshrrev_b32_e32 v25, 8, v2
	v_sub_nc_u32_e32 v27, 0x3f1, v23
	v_cndmask_b32_e64 v7, 0, 1, vcc_lo
	v_cmp_ne_u32_e32 vcc_lo, 0, v1
	v_and_or_b32 v5, 0xffe, v15, v5
	v_sub_nc_u32_e32 v29, 0x3f1, v26
	v_and_or_b32 v13, 0x1ff, v14, v13
	v_and_or_b32 v7, 0xffe, v18, v7
	v_cndmask_b32_e64 v1, 0, 1, vcc_lo
	v_med3_i32 v18, v27, 0, 13
	v_cmp_ne_u32_e32 vcc_lo, 0, v5
	v_med3_i32 v15, v24, 0, 13
	v_or_b32_e32 v27, 0x1000, v5
	v_and_or_b32 v1, 0xffe, v25, v1
	v_med3_i32 v25, v29, 0, 13
	v_or_b32_e32 v29, 0x1000, v7
	v_lshl_or_b32 v30, v16, 12, v5
	v_cndmask_b32_e64 v5, 0, 1, vcc_lo
	v_cmp_ne_u32_e32 vcc_lo, 0, v13
	v_add_nc_u32_e32 v23, 0xfffffc10, v23
	v_lshrrev_b32_e32 v34, v18, v29
	v_lshrrev_b32_e32 v33, v15, v27
	v_lshrrev_b32_e32 v24, 8, v14
	v_cndmask_b32_e64 v13, 0, 1, vcc_lo
	v_cmp_ne_u32_e32 vcc_lo, 0, v7
	v_lshlrev_b32_e32 v18, v18, v34
	v_bfe_u32 v28, v14, 20, 11
	v_lshl_or_b32 v32, v23, 12, v7
	v_lshlrev_b32_e32 v15, v15, v33
	v_cndmask_b32_e64 v7, 0, 1, vcc_lo
	v_cmp_ne_u32_e32 vcc_lo, v18, v29
	v_sub_nc_u32_e32 v31, 0x3f1, v28
	v_and_or_b32 v13, 0xffe, v24, v13
	v_add_nc_u32_e32 v28, 0xfffffc10, v28
	v_lshl_or_b32 v7, v7, 9, 0x7c00
	v_cndmask_b32_e64 v18, 0, 1, vcc_lo
	v_cmp_ne_u32_e32 vcc_lo, v15, v27
	v_med3_i32 v24, v31, 0, 13
	v_or_b32_e32 v36, 0x1000, v13
	v_lshl_or_b32 v29, v28, 12, v13
	v_or_b32_e32 v18, v34, v18
	v_cndmask_b32_e64 v15, 0, 1, vcc_lo
	v_cmp_gt_i32_e32 vcc_lo, 1, v23
	v_lshrrev_b32_e32 v27, v24, v36
	v_cmp_gt_i32_e64 s3, 1, v28
	v_or_b32_e32 v31, 0x1000, v1
	v_or_b32_e32 v15, v33, v15
	v_cndmask_b32_e32 v18, v32, v18, vcc_lo
	v_cmp_gt_i32_e32 vcc_lo, 1, v16
	v_lshlrev_b32_e32 v24, v24, v27
	v_lshrrev_b32_e32 v8, 16, v8
	v_lshl_or_b32 v5, v5, 9, 0x7c00
	v_lshrrev_b32_e32 v34, v25, v31
	v_cndmask_b32_e32 v15, v30, v15, vcc_lo
	v_cmp_ne_u32_e32 vcc_lo, v24, v36
	v_and_b32_e32 v30, 7, v18
	v_lshrrev_b32_e32 v18, 2, v18
	v_lshlrev_b32_e32 v25, v25, v34
	v_and_b32_e32 v32, 7, v15
	v_cndmask_b32_e64 v24, 0, 1, vcc_lo
	v_cmp_lt_i32_e32 vcc_lo, 5, v30
	v_cmp_eq_u32_e64 s0, 3, v30
	v_lshrrev_b32_e32 v15, 2, v15
	v_cmp_lt_i32_e64 s1, 5, v32
	v_cmp_eq_u32_e64 s2, 3, v32
	v_or_b32_e32 v24, v27, v24
	s_or_b32 vcc_lo, s0, vcc_lo
	v_add_nc_u32_e32 v26, 0xfffffc10, v26
	v_add_co_ci_u32_e32 v18, vcc_lo, 0, v18, vcc_lo
	s_or_b32 vcc_lo, s2, s1
	v_cndmask_b32_e64 v24, v29, v24, s3
	v_add_co_ci_u32_e32 v15, vcc_lo, 0, v15, vcc_lo
	v_cmp_gt_i32_e32 vcc_lo, 31, v23
	v_cmp_eq_u32_e64 s1, 0x40f, v16
	v_and_b32_e32 v27, 7, v24
	v_lshl_or_b32 v35, v26, 12, v1
	v_and_or_b32 v9, 0x1ff, v10, v9
	v_cndmask_b32_e32 v18, 0x7c00, v18, vcc_lo
	v_cmp_gt_i32_e32 vcc_lo, 31, v16
	v_cmp_eq_u32_e64 s0, 3, v27
	v_lshrrev_b32_e32 v14, 16, v14
	s_mul_hi_u32 s2, s8, 0xa80
	s_mul_i32 s3, s8, 0xa80
	v_cndmask_b32_e32 v15, 0x7c00, v15, vcc_lo
	v_cmp_eq_u32_e32 vcc_lo, 0x40f, v23
	v_cndmask_b32_e64 v5, v15, v5, s1
	v_cndmask_b32_e32 v7, v18, v7, vcc_lo
	v_cmp_lt_i32_e32 vcc_lo, 5, v27
	v_lshrrev_b32_e32 v15, 2, v24
	v_cmp_ne_u32_e64 s1, v25, v31
	v_and_or_b32 v5, 0x8000, v6, v5
	v_and_or_b32 v7, 0x8000, v8, v7
	s_or_b32 vcc_lo, s0, vcc_lo
	v_lshrrev_b32_e32 v24, 16, v2
	v_cndmask_b32_e64 v8, 0, 1, s1
	v_cmp_ne_u32_e64 s1, 0, v9
	v_and_b32_e32 v6, 0xffff, v7
	v_add_co_ci_u32_e32 v7, vcc_lo, 0, v15, vcc_lo
	v_cmp_ne_u32_e32 vcc_lo, 0, v13
	v_or_b32_e32 v8, v34, v8
	v_lshl_or_b32 v15, v5, 16, v6
	v_cndmask_b32_e64 v9, 0, 1, s1
	v_cndmask_b32_e64 v13, 0, 1, vcc_lo
	v_cmp_gt_i32_e32 vcc_lo, 31, v28
	v_lshl_or_b32 v6, v13, 9, 0x7c00
	v_cndmask_b32_e32 v5, 0x7c00, v7, vcc_lo
	v_cmp_gt_i32_e32 vcc_lo, 1, v26
	v_cvt_f32_f16_e32 v7, v17
	v_cndmask_b32_e32 v13, v35, v8, vcc_lo
	v_cmp_eq_u32_e32 vcc_lo, 0x40f, v28
	v_add_nc_u32_e32 v8, 0xe00, v22
	v_and_b32_e32 v17, 7, v13
	v_cndmask_b32_e32 v16, v5, v6, vcc_lo
	v_cvt_f64_f32_e32 v[5:6], v7
	ds_read2_b32 v[7:8], v8 offset1:224
	v_add_co_u32 v18, vcc_lo, s4, v3
	v_add_co_ci_u32_e32 v22, vcc_lo, s5, v4, vcc_lo
	v_cmp_lt_i32_e32 vcc_lo, 5, v17
	v_cmp_eq_u32_e64 s0, 3, v17
	v_lshlrev_b64 v[3:4], 2, v[11:12]
	v_lshrrev_b32_e32 v12, 2, v13
	v_and_or_b32 v11, 0x8000, v14, v16
	v_lshrrev_b32_e32 v13, 8, v10
	v_bfe_u32 v14, v10, 20, 11
	s_or_b32 vcc_lo, s0, vcc_lo
	s_mul_i32 s0, s9, 0xa80
	v_add_co_ci_u32_e32 v12, vcc_lo, 0, v12, vcc_lo
	v_cmp_ne_u32_e32 vcc_lo, 0, v1
	v_and_or_b32 v9, 0xffe, v13, v9
	v_sub_nc_u32_e32 v13, 0x3f1, v14
	v_and_b32_e32 v11, 0xffff, v11
	s_waitcnt lgkmcnt(0)
	v_lshrrev_b32_e32 v16, 16, v7
	v_mul_f64 v[5:6], v[5:6], s[6:7]
	v_cndmask_b32_e64 v1, 0, 1, vcc_lo
	v_cmp_gt_i32_e32 vcc_lo, 31, v26
	v_or_b32_e32 v17, 0x1000, v9
	v_med3_i32 v13, v13, 0, 13
	v_mul_f16_sdwa v23, v21, v16 dst_sel:DWORD dst_unused:UNUSED_PAD src0_sel:WORD_1 src1_sel:DWORD
	v_lshl_or_b32 v1, v1, 9, 0x7c00
	v_cndmask_b32_e32 v12, 0x7c00, v12, vcc_lo
	v_cmp_eq_u32_e32 vcc_lo, 0x40f, v26
	v_lshrrev_b32_e32 v25, v13, v17
	v_fmac_f16_e32 v23, v21, v7
	s_add_i32 s2, s2, s0
	v_mul_f16_sdwa v7, v21, v7 dst_sel:DWORD dst_unused:UNUSED_PAD src0_sel:WORD_1 src1_sel:DWORD
	v_cndmask_b32_e32 v12, v12, v1, vcc_lo
	v_lshlrev_b32_e32 v13, v13, v25
	v_add_co_u32 v1, vcc_lo, v18, v3
	v_cvt_f32_f16_e32 v3, v23
	v_add_co_ci_u32_e32 v2, vcc_lo, v22, v4, vcc_lo
	v_and_or_b32 v12, 0x8000, v24, v12
	v_cmp_ne_u32_e32 vcc_lo, v13, v17
	v_and_or_b32 v5, 0x1ff, v6, v5
	v_cvt_f64_f32_e32 v[3:4], v3
	global_store_dword v[1:2], v15, off
	v_lshl_or_b32 v15, v12, 16, v11
	v_cndmask_b32_e64 v11, 0, 1, vcc_lo
	v_cmp_ne_u32_e32 vcc_lo, 0, v5
	v_add_nc_u32_e32 v13, 0xfffffc10, v14
	v_lshrrev_b32_e32 v12, 8, v6
	v_bfe_u32 v14, v6, 20, 11
	v_or_b32_e32 v11, v25, v11
	v_cndmask_b32_e64 v5, 0, 1, vcc_lo
	v_lshl_or_b32 v17, v13, 12, v9
	v_cmp_gt_i32_e32 vcc_lo, 1, v13
	v_fma_f16 v7, v21, v16, -v7
	v_lshrrev_b32_e32 v6, 16, v6
	v_and_or_b32 v5, 0xffe, v12, v5
	v_sub_nc_u32_e32 v12, 0x3f1, v14
	v_cndmask_b32_e32 v11, v17, v11, vcc_lo
	v_add_co_u32 v1, vcc_lo, v1, s3
	v_or_b32_e32 v17, 0x1000, v5
	v_med3_i32 v12, v12, 0, 13
	v_and_b32_e32 v18, 7, v11
	v_mul_f64 v[3:4], v[3:4], s[6:7]
	v_add_co_ci_u32_e32 v2, vcc_lo, s2, v2, vcc_lo
	v_lshrrev_b32_e32 v22, v12, v17
	v_cmp_lt_i32_e32 vcc_lo, 5, v18
	v_cmp_eq_u32_e64 s0, 3, v18
	v_lshrrev_b32_e32 v11, 2, v11
	v_cvt_f32_f16_e32 v7, v7
	v_lshlrev_b32_e32 v12, v12, v22
	v_add_nc_u32_e32 v14, 0xfffffc10, v14
	s_or_b32 vcc_lo, s0, vcc_lo
	v_cmp_ne_u32_e64 s1, v12, v17
	v_add_co_ci_u32_e32 v17, vcc_lo, 0, v11, vcc_lo
	v_cmp_ne_u32_e32 vcc_lo, 0, v9
	v_cvt_f64_f32_e32 v[11:12], v7
	v_cndmask_b32_e64 v16, 0, 1, s1
	s_mul_i32 s1, s9, 0xfffff900
	v_cndmask_b32_e64 v9, 0, 1, vcc_lo
	v_and_or_b32 v3, 0x1ff, v4, v3
	v_or_b32_e32 v7, v22, v16
	v_lshl_or_b32 v16, v14, 12, v5
	v_cmp_gt_i32_e32 vcc_lo, 1, v14
	v_bfe_u32 v18, v4, 20, 11
	v_lshl_or_b32 v9, v9, 9, 0x7c00
	s_sub_i32 s4, s1, s8
	v_cndmask_b32_e32 v7, v16, v7, vcc_lo
	v_cmp_ne_u32_e32 vcc_lo, 0, v3
	v_lshrrev_b32_e32 v16, 8, v4
	v_and_b32_e32 v21, 7, v7
	v_cndmask_b32_e64 v3, 0, 1, vcc_lo
	v_cmp_gt_i32_e32 vcc_lo, 31, v13
	v_lshrrev_b32_e32 v7, 2, v7
	v_mul_f64 v[11:12], v[11:12], s[6:7]
	v_cmp_eq_u32_e64 s0, 3, v21
	v_and_or_b32 v3, 0xffe, v16, v3
	v_cndmask_b32_e32 v17, 0x7c00, v17, vcc_lo
	v_cmp_eq_u32_e32 vcc_lo, 0x40f, v13
	v_sub_nc_u32_e32 v16, 0x3f1, v18
	v_cndmask_b32_e32 v13, v17, v9, vcc_lo
	v_cmp_lt_i32_e32 vcc_lo, 5, v21
	v_or_b32_e32 v9, 0x1000, v3
	v_med3_i32 v16, v16, 0, 13
	v_lshrrev_b32_e32 v17, 16, v10
	v_lshrrev_b32_e32 v21, 16, v0
	s_or_b32 vcc_lo, s0, vcc_lo
	v_add_co_ci_u32_e32 v7, vcc_lo, 0, v7, vcc_lo
	v_lshrrev_b32_e32 v10, v16, v9
	v_cmp_ne_u32_e32 vcc_lo, 0, v5
	v_mul_f16_sdwa v22, v20, v21 dst_sel:DWORD dst_unused:UNUSED_PAD src0_sel:WORD_1 src1_sel:DWORD
	v_and_or_b32 v11, 0x1ff, v12, v11
	v_and_or_b32 v13, 0x8000, v17, v13
	v_lshlrev_b32_e32 v16, v16, v10
	v_cndmask_b32_e64 v5, 0, 1, vcc_lo
	v_cmp_gt_i32_e32 vcc_lo, 31, v14
	v_fmac_f16_e32 v22, v20, v0
	v_and_b32_e32 v24, 0xffff, v13
	v_mul_f16_sdwa v0, v20, v0 dst_sel:DWORD dst_unused:UNUSED_PAD src0_sel:WORD_1 src1_sel:DWORD
	v_lshl_or_b32 v5, v5, 9, 0x7c00
	v_cndmask_b32_e32 v7, 0x7c00, v7, vcc_lo
	v_cmp_ne_u32_e32 vcc_lo, v16, v9
	v_add_nc_u32_e32 v16, 0xfffffc10, v18
	v_cvt_f32_f16_e32 v18, v22
	v_bfe_u32 v22, v12, 20, 11
	v_fma_f16 v0, v20, v21, -v0
	v_cndmask_b32_e64 v9, 0, 1, vcc_lo
	v_cmp_eq_u32_e32 vcc_lo, 0x40f, v14
	v_lshl_or_b32 v14, v16, 12, v3
	v_lshrrev_b32_e32 v21, 16, v8
	v_cvt_f32_f16_e32 v0, v0
	v_cndmask_b32_e32 v5, v7, v5, vcc_lo
	v_cmp_ne_u32_e32 vcc_lo, 0, v11
	v_or_b32_e32 v7, v10, v9
	v_cvt_f64_f32_e32 v[9:10], v18
	v_lshrrev_b32_e32 v18, 8, v12
	v_and_or_b32 v17, 0x8000, v6, v5
	v_cndmask_b32_e64 v11, 0, 1, vcc_lo
	v_cmp_gt_i32_e32 vcc_lo, 1, v16
	v_mad_u64_u32 v[5:6], null, 0xfffff900, s8, v[1:2]
	v_and_or_b32 v11, 0xffe, v18, v11
	v_cndmask_b32_e32 v7, v14, v7, vcc_lo
	v_sub_nc_u32_e32 v14, 0x3f1, v22
	v_or_b32_e32 v23, 0x1000, v11
	v_and_b32_e32 v18, 7, v7
	v_med3_i32 v14, v14, 0, 13
	v_lshrrev_b32_e32 v7, 2, v7
	v_add_nc_u32_e32 v6, s4, v6
	v_cmp_lt_i32_e32 vcc_lo, 5, v18
	v_lshrrev_b32_e32 v13, v14, v23
	v_cmp_eq_u32_e64 s0, 3, v18
	v_mul_f64 v[9:10], v[9:10], s[6:7]
	v_add_nc_u32_e32 v18, 0xfffffc10, v22
	v_lshlrev_b32_e32 v14, v14, v13
	s_or_b32 vcc_lo, s0, vcc_lo
	v_add_co_ci_u32_e32 v7, vcc_lo, 0, v7, vcc_lo
	v_cmp_ne_u32_e32 vcc_lo, v14, v23
	v_cndmask_b32_e64 v14, 0, 1, vcc_lo
	v_cmp_ne_u32_e32 vcc_lo, 0, v3
	v_or_b32_e32 v13, v13, v14
	v_cndmask_b32_e64 v3, 0, 1, vcc_lo
	v_cmp_gt_i32_e32 vcc_lo, 31, v16
	v_lshl_or_b32 v14, v18, 12, v11
	v_and_or_b32 v9, 0x1ff, v10, v9
	v_bfe_u32 v20, v10, 20, 11
	v_lshl_or_b32 v3, v3, 9, 0x7c00
	v_cndmask_b32_e32 v7, 0x7c00, v7, vcc_lo
	v_cmp_gt_i32_e32 vcc_lo, 1, v18
	v_cndmask_b32_e32 v13, v14, v13, vcc_lo
	v_cmp_eq_u32_e32 vcc_lo, 0x40f, v16
	v_lshrrev_b32_e32 v14, 16, v4
	v_and_b32_e32 v16, 7, v13
	v_cndmask_b32_e32 v7, v7, v3, vcc_lo
	v_cmp_ne_u32_e32 vcc_lo, 0, v9
	v_cvt_f64_f32_e32 v[3:4], v0
	v_lshrrev_b32_e32 v9, 8, v10
	v_cmp_eq_u32_e64 s0, 3, v16
	v_and_or_b32 v14, 0x8000, v14, v7
	v_cndmask_b32_e64 v0, 0, 1, vcc_lo
	v_sub_nc_u32_e32 v7, 0x3f1, v20
	v_cmp_lt_i32_e32 vcc_lo, 5, v16
	v_lshrrev_b32_e32 v13, 2, v13
	v_lshrrev_b32_e32 v10, 16, v10
	v_and_or_b32 v0, 0xffe, v9, v0
	v_mul_f16_sdwa v9, v19, v21 dst_sel:DWORD dst_unused:UNUSED_PAD src0_sel:WORD_1 src1_sel:DWORD
	v_med3_i32 v22, v7, 0, 13
	s_or_b32 vcc_lo, s0, vcc_lo
	v_or_b32_e32 v16, 0x1000, v0
	v_fmac_f16_e32 v9, v19, v8
	v_add_co_ci_u32_e32 v13, vcc_lo, 0, v13, vcc_lo
	v_cmp_ne_u32_e32 vcc_lo, 0, v11
	v_lshrrev_b32_e32 v23, v22, v16
	v_cvt_f32_f16_e32 v7, v9
	v_mul_f16_sdwa v11, v19, v8 dst_sel:DWORD dst_unused:UNUSED_PAD src0_sel:WORD_1 src1_sel:DWORD
	v_mul_f64 v[3:4], v[3:4], s[6:7]
	v_cndmask_b32_e64 v9, 0, 1, vcc_lo
	v_lshlrev_b32_e32 v22, v22, v23
	v_cvt_f64_f32_e32 v[7:8], v7
	v_cmp_gt_i32_e32 vcc_lo, 31, v18
	v_fma_f16 v11, v19, v21, -v11
	v_lshl_or_b32 v9, v9, 9, 0x7c00
	v_add_nc_u32_e32 v19, 0xfffffc10, v20
	v_and_b32_e32 v20, 0xffff, v14
	v_cndmask_b32_e32 v13, 0x7c00, v13, vcc_lo
	v_cmp_ne_u32_e32 vcc_lo, v22, v16
	v_cvt_f32_f16_e32 v11, v11
	v_cndmask_b32_e64 v16, 0, 1, vcc_lo
	v_cmp_eq_u32_e32 vcc_lo, 0x40f, v18
	v_lshl_or_b32 v18, v19, 12, v0
	v_or_b32_e32 v16, v23, v16
	v_cndmask_b32_e32 v9, v13, v9, vcc_lo
	v_lshrrev_b32_e32 v13, 16, v12
	v_cvt_f64_f32_e32 v[11:12], v11
	v_cmp_gt_i32_e32 vcc_lo, 1, v19
	v_and_or_b32 v3, 0x1ff, v4, v3
	v_mul_f64 v[7:8], v[7:8], s[6:7]
	v_and_or_b32 v9, 0x8000, v13, v9
	v_lshrrev_b32_e32 v21, 8, v4
	v_cndmask_b32_e32 v16, v18, v16, vcc_lo
	v_add_co_u32 v13, vcc_lo, v5, s3
	v_add_co_ci_u32_e32 v14, vcc_lo, s2, v6, vcc_lo
	v_and_b32_e32 v18, 7, v16
	v_cmp_ne_u32_e32 vcc_lo, 0, v3
	v_lshrrev_b32_e32 v16, 2, v16
	v_bfe_u32 v22, v4, 20, 11
	v_lshl_or_b32 v9, v9, 16, v20
	v_cmp_eq_u32_e64 s0, 3, v18
	v_cndmask_b32_e64 v3, 0, 1, vcc_lo
	v_cmp_lt_i32_e32 vcc_lo, 5, v18
	v_sub_nc_u32_e32 v18, 0x3f1, v22
	v_mul_f64 v[11:12], v[11:12], s[6:7]
	s_or_b32 vcc_lo, s0, vcc_lo
	v_and_or_b32 v3, 0xffe, v21, v3
	v_add_co_ci_u32_e32 v16, vcc_lo, 0, v16, vcc_lo
	v_cmp_ne_u32_e32 vcc_lo, 0, v0
	v_med3_i32 v18, v18, 0, 13
	v_or_b32_e32 v21, 0x1000, v3
	v_and_or_b32 v7, 0x1ff, v8, v7
	v_lshrrev_b32_e32 v25, 8, v8
	v_cndmask_b32_e64 v0, 0, 1, vcc_lo
	v_cmp_gt_i32_e32 vcc_lo, 31, v19
	v_lshrrev_b32_e32 v23, v18, v21
	v_bfe_u32 v26, v8, 20, 11
	v_lshrrev_b32_e32 v8, 16, v8
	v_lshl_or_b32 v0, v0, 9, 0x7c00
	v_cndmask_b32_e32 v16, 0x7c00, v16, vcc_lo
	v_cmp_ne_u32_e32 vcc_lo, 0, v7
	v_lshlrev_b32_e32 v18, v18, v23
	v_cndmask_b32_e64 v7, 0, 1, vcc_lo
	v_cmp_eq_u32_e32 vcc_lo, 0x40f, v19
	v_and_or_b32 v11, 0x1ff, v12, v11
	v_add_nc_u32_e32 v19, 0xfffffc10, v22
	v_lshrrev_b32_e32 v22, 8, v12
	v_and_or_b32 v7, 0xffe, v25, v7
	v_cndmask_b32_e32 v0, v16, v0, vcc_lo
	v_sub_nc_u32_e32 v16, 0x3f1, v26
	v_cmp_ne_u32_e32 vcc_lo, v18, v21
	v_bfe_u32 v25, v12, 20, 11
	v_or_b32_e32 v21, 0x1000, v7
	v_and_or_b32 v0, 0x8000, v10, v0
	v_med3_i32 v16, v16, 0, 13
	v_cndmask_b32_e64 v18, 0, 1, vcc_lo
	v_cmp_ne_u32_e32 vcc_lo, 0, v11
	v_and_b32_e32 v0, 0xffff, v0
	v_lshrrev_b32_e32 v27, v16, v21
	v_or_b32_e32 v18, v23, v18
	v_cndmask_b32_e64 v11, 0, 1, vcc_lo
	v_lshl_or_b32 v23, v19, 12, v3
	v_cmp_gt_i32_e32 vcc_lo, 1, v19
	v_lshlrev_b32_e32 v16, v16, v27
	v_and_or_b32 v11, 0xffe, v22, v11
	v_sub_nc_u32_e32 v22, 0x3f1, v25
	v_cndmask_b32_e32 v18, v23, v18, vcc_lo
	v_cmp_ne_u32_e32 vcc_lo, v16, v21
	v_add_nc_u32_e32 v21, 0xfffffc10, v26
	v_or_b32_e32 v23, 0x1000, v11
	v_med3_i32 v22, v22, 0, 13
	v_and_b32_e32 v28, 7, v18
	v_cndmask_b32_e64 v16, 0, 1, vcc_lo
	v_cmp_gt_i32_e64 s1, 1, v21
	v_lshrrev_b32_e32 v18, 2, v18
	v_lshrrev_b32_e32 v26, v22, v23
	v_cmp_lt_i32_e32 vcc_lo, 5, v28
	v_or_b32_e32 v10, v27, v16
	v_lshl_or_b32 v16, v21, 12, v7
	v_cmp_eq_u32_e64 s0, 3, v28
	v_lshlrev_b32_e32 v22, v22, v26
	v_cndmask_b32_e64 v10, v16, v10, s1
	s_or_b32 vcc_lo, s0, vcc_lo
	v_cmp_ne_u32_e64 s1, v22, v23
	v_add_nc_u32_e32 v22, 0xfffffc10, v25
	v_add_co_ci_u32_e32 v18, vcc_lo, 0, v18, vcc_lo
	v_and_b32_e32 v23, 7, v10
	v_cndmask_b32_e64 v16, 0, 1, s1
	v_cmp_ne_u32_e32 vcc_lo, 0, v3
	v_lshl_or_b32 v25, v22, 12, v11
	v_cmp_gt_i32_e64 s1, 1, v22
	v_cmp_eq_u32_e64 s0, 3, v23
	v_or_b32_e32 v16, v26, v16
	v_cndmask_b32_e64 v3, 0, 1, vcc_lo
	v_cmp_lt_i32_e32 vcc_lo, 5, v23
	v_lshrrev_b32_e32 v10, 2, v10
	v_cndmask_b32_e64 v16, v25, v16, s1
	v_cmp_gt_i32_e64 s1, 31, v19
	s_or_b32 vcc_lo, s0, vcc_lo
	v_lshl_or_b32 v3, v3, 9, 0x7c00
	v_add_co_ci_u32_e32 v10, vcc_lo, 0, v10, vcc_lo
	v_and_b32_e32 v23, 7, v16
	v_cmp_ne_u32_e32 vcc_lo, 0, v7
	v_lshrrev_b32_e32 v16, 2, v16
	v_cndmask_b32_e64 v18, 0x7c00, v18, s1
	v_cmp_gt_i32_e64 s1, 31, v21
	v_cmp_eq_u32_e64 s0, 3, v23
	v_cndmask_b32_e64 v7, 0, 1, vcc_lo
	v_cmp_lt_i32_e32 vcc_lo, 5, v23
	v_cndmask_b32_e64 v10, 0x7c00, v10, s1
	v_lshl_or_b32 v7, v7, 9, 0x7c00
	s_or_b32 vcc_lo, s0, vcc_lo
	v_add_co_ci_u32_e32 v16, vcc_lo, 0, v16, vcc_lo
	v_cmp_ne_u32_e32 vcc_lo, 0, v11
	v_cndmask_b32_e64 v11, 0, 1, vcc_lo
	v_cmp_eq_u32_e32 vcc_lo, 0x40f, v21
	v_lshl_or_b32 v11, v11, 9, 0x7c00
	v_cndmask_b32_e32 v7, v10, v7, vcc_lo
	v_cmp_gt_i32_e32 vcc_lo, 31, v22
	v_and_or_b32 v7, 0x8000, v8, v7
	v_cndmask_b32_e32 v10, 0x7c00, v16, vcc_lo
	v_cmp_eq_u32_e32 vcc_lo, 0x40f, v19
	v_and_b32_e32 v7, 0xffff, v7
	v_cndmask_b32_e32 v16, v18, v3, vcc_lo
	v_cmp_eq_u32_e32 vcc_lo, 0x40f, v22
	v_lshrrev_b32_e32 v18, 16, v4
	v_mad_u64_u32 v[3:4], null, 0xfffff900, s8, v[13:14]
	v_cndmask_b32_e32 v8, v10, v11, vcc_lo
	v_lshrrev_b32_e32 v10, 16, v12
	v_and_or_b32 v11, 0x8000, v18, v16
	v_add_nc_u32_e32 v4, s4, v4
	v_and_or_b32 v8, 0x8000, v10, v8
	v_lshl_or_b32 v10, v17, 16, v24
	v_lshl_or_b32 v0, v11, 16, v0
	;; [unrolled: 1-line block ×3, first 2 shown]
	v_add_co_u32 v7, vcc_lo, v3, s3
	v_add_co_ci_u32_e32 v8, vcc_lo, s2, v4, vcc_lo
	global_store_dword v[1:2], v15, off
	global_store_dword v[5:6], v10, off
	;; [unrolled: 1-line block ×5, first 2 shown]
.LBB0_10:
	s_endpgm
	.section	.rodata,"a",@progbits
	.p2align	6, 0x0
	.amdhsa_kernel bluestein_single_back_len1344_dim1_half_op_CI_CI
		.amdhsa_group_segment_fixed_size 5376
		.amdhsa_private_segment_fixed_size 0
		.amdhsa_kernarg_size 104
		.amdhsa_user_sgpr_count 6
		.amdhsa_user_sgpr_private_segment_buffer 1
		.amdhsa_user_sgpr_dispatch_ptr 0
		.amdhsa_user_sgpr_queue_ptr 0
		.amdhsa_user_sgpr_kernarg_segment_ptr 1
		.amdhsa_user_sgpr_dispatch_id 0
		.amdhsa_user_sgpr_flat_scratch_init 0
		.amdhsa_user_sgpr_private_segment_size 0
		.amdhsa_wavefront_size32 1
		.amdhsa_uses_dynamic_stack 0
		.amdhsa_system_sgpr_private_segment_wavefront_offset 0
		.amdhsa_system_sgpr_workgroup_id_x 1
		.amdhsa_system_sgpr_workgroup_id_y 0
		.amdhsa_system_sgpr_workgroup_id_z 0
		.amdhsa_system_sgpr_workgroup_info 0
		.amdhsa_system_vgpr_workitem_id 0
		.amdhsa_next_free_vgpr 78
		.amdhsa_next_free_sgpr 20
		.amdhsa_reserve_vcc 1
		.amdhsa_reserve_flat_scratch 0
		.amdhsa_float_round_mode_32 0
		.amdhsa_float_round_mode_16_64 0
		.amdhsa_float_denorm_mode_32 3
		.amdhsa_float_denorm_mode_16_64 3
		.amdhsa_dx10_clamp 1
		.amdhsa_ieee_mode 1
		.amdhsa_fp16_overflow 0
		.amdhsa_workgroup_processor_mode 1
		.amdhsa_memory_ordered 1
		.amdhsa_forward_progress 0
		.amdhsa_shared_vgpr_count 0
		.amdhsa_exception_fp_ieee_invalid_op 0
		.amdhsa_exception_fp_denorm_src 0
		.amdhsa_exception_fp_ieee_div_zero 0
		.amdhsa_exception_fp_ieee_overflow 0
		.amdhsa_exception_fp_ieee_underflow 0
		.amdhsa_exception_fp_ieee_inexact 0
		.amdhsa_exception_int_div_zero 0
	.end_amdhsa_kernel
	.text
.Lfunc_end0:
	.size	bluestein_single_back_len1344_dim1_half_op_CI_CI, .Lfunc_end0-bluestein_single_back_len1344_dim1_half_op_CI_CI
                                        ; -- End function
	.section	.AMDGPU.csdata,"",@progbits
; Kernel info:
; codeLenInByte = 11072
; NumSgprs: 22
; NumVgprs: 78
; ScratchSize: 0
; MemoryBound: 0
; FloatMode: 240
; IeeeMode: 1
; LDSByteSize: 5376 bytes/workgroup (compile time only)
; SGPRBlocks: 2
; VGPRBlocks: 9
; NumSGPRsForWavesPerEU: 22
; NumVGPRsForWavesPerEU: 78
; Occupancy: 12
; WaveLimiterHint : 1
; COMPUTE_PGM_RSRC2:SCRATCH_EN: 0
; COMPUTE_PGM_RSRC2:USER_SGPR: 6
; COMPUTE_PGM_RSRC2:TRAP_HANDLER: 0
; COMPUTE_PGM_RSRC2:TGID_X_EN: 1
; COMPUTE_PGM_RSRC2:TGID_Y_EN: 0
; COMPUTE_PGM_RSRC2:TGID_Z_EN: 0
; COMPUTE_PGM_RSRC2:TIDIG_COMP_CNT: 0
	.text
	.p2alignl 6, 3214868480
	.fill 48, 4, 3214868480
	.type	__hip_cuid_c04e32ed28a1ffca,@object ; @__hip_cuid_c04e32ed28a1ffca
	.section	.bss,"aw",@nobits
	.globl	__hip_cuid_c04e32ed28a1ffca
__hip_cuid_c04e32ed28a1ffca:
	.byte	0                               ; 0x0
	.size	__hip_cuid_c04e32ed28a1ffca, 1

	.ident	"AMD clang version 19.0.0git (https://github.com/RadeonOpenCompute/llvm-project roc-6.4.0 25133 c7fe45cf4b819c5991fe208aaa96edf142730f1d)"
	.section	".note.GNU-stack","",@progbits
	.addrsig
	.addrsig_sym __hip_cuid_c04e32ed28a1ffca
	.amdgpu_metadata
---
amdhsa.kernels:
  - .args:
      - .actual_access:  read_only
        .address_space:  global
        .offset:         0
        .size:           8
        .value_kind:     global_buffer
      - .actual_access:  read_only
        .address_space:  global
        .offset:         8
        .size:           8
        .value_kind:     global_buffer
      - .actual_access:  read_only
        .address_space:  global
        .offset:         16
        .size:           8
        .value_kind:     global_buffer
      - .actual_access:  read_only
        .address_space:  global
        .offset:         24
        .size:           8
        .value_kind:     global_buffer
      - .actual_access:  read_only
        .address_space:  global
        .offset:         32
        .size:           8
        .value_kind:     global_buffer
      - .offset:         40
        .size:           8
        .value_kind:     by_value
      - .address_space:  global
        .offset:         48
        .size:           8
        .value_kind:     global_buffer
      - .address_space:  global
        .offset:         56
        .size:           8
        .value_kind:     global_buffer
      - .address_space:  global
        .offset:         64
        .size:           8
        .value_kind:     global_buffer
      - .address_space:  global
        .offset:         72
        .size:           8
        .value_kind:     global_buffer
      - .offset:         80
        .size:           4
        .value_kind:     by_value
      - .address_space:  global
        .offset:         88
        .size:           8
        .value_kind:     global_buffer
      - .address_space:  global
        .offset:         96
        .size:           8
        .value_kind:     global_buffer
    .group_segment_fixed_size: 5376
    .kernarg_segment_align: 8
    .kernarg_segment_size: 104
    .language:       OpenCL C
    .language_version:
      - 2
      - 0
    .max_flat_workgroup_size: 224
    .name:           bluestein_single_back_len1344_dim1_half_op_CI_CI
    .private_segment_fixed_size: 0
    .sgpr_count:     22
    .sgpr_spill_count: 0
    .symbol:         bluestein_single_back_len1344_dim1_half_op_CI_CI.kd
    .uniform_work_group_size: 1
    .uses_dynamic_stack: false
    .vgpr_count:     78
    .vgpr_spill_count: 0
    .wavefront_size: 32
    .workgroup_processor_mode: 1
amdhsa.target:   amdgcn-amd-amdhsa--gfx1030
amdhsa.version:
  - 1
  - 2
...

	.end_amdgpu_metadata
